;; amdgpu-corpus repo=ROCm/rocFFT kind=compiled arch=gfx1030 opt=O3
	.text
	.amdgcn_target "amdgcn-amd-amdhsa--gfx1030"
	.amdhsa_code_object_version 6
	.protected	fft_rtc_fwd_len750_factors_10_5_3_5_wgs_250_tpt_250_halfLds_sp_op_CI_CI_unitstride_sbrr_R2C_dirReg ; -- Begin function fft_rtc_fwd_len750_factors_10_5_3_5_wgs_250_tpt_250_halfLds_sp_op_CI_CI_unitstride_sbrr_R2C_dirReg
	.globl	fft_rtc_fwd_len750_factors_10_5_3_5_wgs_250_tpt_250_halfLds_sp_op_CI_CI_unitstride_sbrr_R2C_dirReg
	.p2align	8
	.type	fft_rtc_fwd_len750_factors_10_5_3_5_wgs_250_tpt_250_halfLds_sp_op_CI_CI_unitstride_sbrr_R2C_dirReg,@function
fft_rtc_fwd_len750_factors_10_5_3_5_wgs_250_tpt_250_halfLds_sp_op_CI_CI_unitstride_sbrr_R2C_dirReg: ; @fft_rtc_fwd_len750_factors_10_5_3_5_wgs_250_tpt_250_halfLds_sp_op_CI_CI_unitstride_sbrr_R2C_dirReg
; %bb.0:
	s_clause 0x2
	s_load_dwordx4 s[12:15], s[4:5], 0x0
	s_load_dwordx4 s[8:11], s[4:5], 0x58
	;; [unrolled: 1-line block ×3, first 2 shown]
	v_mul_u32_u24_e32 v1, 0x107, v0
	v_mov_b32_e32 v3, 0
	v_add_nc_u32_sdwa v5, s6, v1 dst_sel:DWORD dst_unused:UNUSED_PAD src0_sel:DWORD src1_sel:WORD_1
	v_mov_b32_e32 v1, 0
	v_mov_b32_e32 v6, v3
	v_mov_b32_e32 v2, 0
	s_waitcnt lgkmcnt(0)
	v_cmp_lt_u64_e64 s0, s[14:15], 2
	s_and_b32 vcc_lo, exec_lo, s0
	s_cbranch_vccnz .LBB0_8
; %bb.1:
	s_load_dwordx2 s[0:1], s[4:5], 0x10
	v_mov_b32_e32 v1, 0
	v_mov_b32_e32 v2, 0
	s_add_u32 s2, s18, 8
	s_addc_u32 s3, s19, 0
	s_add_u32 s6, s16, 8
	s_addc_u32 s7, s17, 0
	v_mov_b32_e32 v9, v2
	v_mov_b32_e32 v8, v1
	s_mov_b64 s[22:23], 1
	s_waitcnt lgkmcnt(0)
	s_add_u32 s20, s0, 8
	s_addc_u32 s21, s1, 0
.LBB0_2:                                ; =>This Inner Loop Header: Depth=1
	s_load_dwordx2 s[24:25], s[20:21], 0x0
                                        ; implicit-def: $vgpr10_vgpr11
	s_mov_b32 s0, exec_lo
	s_waitcnt lgkmcnt(0)
	v_or_b32_e32 v4, s25, v6
	v_cmpx_ne_u64_e32 0, v[3:4]
	s_xor_b32 s1, exec_lo, s0
	s_cbranch_execz .LBB0_4
; %bb.3:                                ;   in Loop: Header=BB0_2 Depth=1
	v_cvt_f32_u32_e32 v4, s24
	v_cvt_f32_u32_e32 v7, s25
	s_sub_u32 s0, 0, s24
	s_subb_u32 s26, 0, s25
	v_fmac_f32_e32 v4, 0x4f800000, v7
	v_rcp_f32_e32 v4, v4
	v_mul_f32_e32 v4, 0x5f7ffffc, v4
	v_mul_f32_e32 v7, 0x2f800000, v4
	v_trunc_f32_e32 v7, v7
	v_fmac_f32_e32 v4, 0xcf800000, v7
	v_cvt_u32_f32_e32 v7, v7
	v_cvt_u32_f32_e32 v4, v4
	v_mul_lo_u32 v10, s0, v7
	v_mul_hi_u32 v11, s0, v4
	v_mul_lo_u32 v12, s26, v4
	v_add_nc_u32_e32 v10, v11, v10
	v_mul_lo_u32 v11, s0, v4
	v_add_nc_u32_e32 v10, v10, v12
	v_mul_hi_u32 v12, v4, v11
	v_mul_lo_u32 v13, v4, v10
	v_mul_hi_u32 v14, v4, v10
	v_mul_hi_u32 v15, v7, v11
	v_mul_lo_u32 v11, v7, v11
	v_mul_hi_u32 v16, v7, v10
	v_mul_lo_u32 v10, v7, v10
	v_add_co_u32 v12, vcc_lo, v12, v13
	v_add_co_ci_u32_e32 v13, vcc_lo, 0, v14, vcc_lo
	v_add_co_u32 v11, vcc_lo, v12, v11
	v_add_co_ci_u32_e32 v11, vcc_lo, v13, v15, vcc_lo
	v_add_co_ci_u32_e32 v12, vcc_lo, 0, v16, vcc_lo
	v_add_co_u32 v10, vcc_lo, v11, v10
	v_add_co_ci_u32_e32 v11, vcc_lo, 0, v12, vcc_lo
	v_add_co_u32 v4, vcc_lo, v4, v10
	v_add_co_ci_u32_e32 v7, vcc_lo, v7, v11, vcc_lo
	v_mul_hi_u32 v10, s0, v4
	v_mul_lo_u32 v12, s26, v4
	v_mul_lo_u32 v11, s0, v7
	v_add_nc_u32_e32 v10, v10, v11
	v_mul_lo_u32 v11, s0, v4
	v_add_nc_u32_e32 v10, v10, v12
	v_mul_hi_u32 v12, v4, v11
	v_mul_lo_u32 v13, v4, v10
	v_mul_hi_u32 v14, v4, v10
	v_mul_hi_u32 v15, v7, v11
	v_mul_lo_u32 v11, v7, v11
	v_mul_hi_u32 v16, v7, v10
	v_mul_lo_u32 v10, v7, v10
	v_add_co_u32 v12, vcc_lo, v12, v13
	v_add_co_ci_u32_e32 v13, vcc_lo, 0, v14, vcc_lo
	v_add_co_u32 v11, vcc_lo, v12, v11
	v_add_co_ci_u32_e32 v11, vcc_lo, v13, v15, vcc_lo
	v_add_co_ci_u32_e32 v12, vcc_lo, 0, v16, vcc_lo
	v_add_co_u32 v10, vcc_lo, v11, v10
	v_add_co_ci_u32_e32 v11, vcc_lo, 0, v12, vcc_lo
	v_add_co_u32 v4, vcc_lo, v4, v10
	v_add_co_ci_u32_e32 v7, vcc_lo, v7, v11, vcc_lo
	v_mul_hi_u32 v16, v5, v4
	v_mad_u64_u32 v[12:13], null, v6, v4, 0
	v_mad_u64_u32 v[10:11], null, v5, v7, 0
	;; [unrolled: 1-line block ×3, first 2 shown]
	v_add_co_u32 v4, vcc_lo, v16, v10
	v_add_co_ci_u32_e32 v7, vcc_lo, 0, v11, vcc_lo
	v_add_co_u32 v4, vcc_lo, v4, v12
	v_add_co_ci_u32_e32 v4, vcc_lo, v7, v13, vcc_lo
	v_add_co_ci_u32_e32 v7, vcc_lo, 0, v15, vcc_lo
	v_add_co_u32 v4, vcc_lo, v4, v14
	v_add_co_ci_u32_e32 v7, vcc_lo, 0, v7, vcc_lo
	v_mul_lo_u32 v12, s25, v4
	v_mad_u64_u32 v[10:11], null, s24, v4, 0
	v_mul_lo_u32 v13, s24, v7
	v_sub_co_u32 v10, vcc_lo, v5, v10
	v_add3_u32 v11, v11, v13, v12
	v_sub_nc_u32_e32 v12, v6, v11
	v_subrev_co_ci_u32_e64 v12, s0, s25, v12, vcc_lo
	v_add_co_u32 v13, s0, v4, 2
	v_add_co_ci_u32_e64 v14, s0, 0, v7, s0
	v_sub_co_u32 v15, s0, v10, s24
	v_sub_co_ci_u32_e32 v11, vcc_lo, v6, v11, vcc_lo
	v_subrev_co_ci_u32_e64 v12, s0, 0, v12, s0
	v_cmp_le_u32_e32 vcc_lo, s24, v15
	v_cmp_eq_u32_e64 s0, s25, v11
	v_cndmask_b32_e64 v15, 0, -1, vcc_lo
	v_cmp_le_u32_e32 vcc_lo, s25, v12
	v_cndmask_b32_e64 v16, 0, -1, vcc_lo
	v_cmp_le_u32_e32 vcc_lo, s24, v10
	;; [unrolled: 2-line block ×3, first 2 shown]
	v_cndmask_b32_e64 v17, 0, -1, vcc_lo
	v_cmp_eq_u32_e32 vcc_lo, s25, v12
	v_cndmask_b32_e64 v10, v17, v10, s0
	v_cndmask_b32_e32 v12, v16, v15, vcc_lo
	v_add_co_u32 v15, vcc_lo, v4, 1
	v_add_co_ci_u32_e32 v16, vcc_lo, 0, v7, vcc_lo
	v_cmp_ne_u32_e32 vcc_lo, 0, v12
	v_cndmask_b32_e32 v11, v16, v14, vcc_lo
	v_cndmask_b32_e32 v12, v15, v13, vcc_lo
	v_cmp_ne_u32_e32 vcc_lo, 0, v10
	v_cndmask_b32_e32 v11, v7, v11, vcc_lo
	v_cndmask_b32_e32 v10, v4, v12, vcc_lo
.LBB0_4:                                ;   in Loop: Header=BB0_2 Depth=1
	s_andn2_saveexec_b32 s0, s1
	s_cbranch_execz .LBB0_6
; %bb.5:                                ;   in Loop: Header=BB0_2 Depth=1
	v_cvt_f32_u32_e32 v4, s24
	s_sub_i32 s1, 0, s24
	v_rcp_iflag_f32_e32 v4, v4
	v_mul_f32_e32 v4, 0x4f7ffffe, v4
	v_cvt_u32_f32_e32 v4, v4
	v_mul_lo_u32 v7, s1, v4
	v_mul_hi_u32 v7, v4, v7
	v_add_nc_u32_e32 v4, v4, v7
	v_mul_hi_u32 v4, v5, v4
	v_mul_lo_u32 v7, v4, s24
	v_add_nc_u32_e32 v10, 1, v4
	v_sub_nc_u32_e32 v7, v5, v7
	v_subrev_nc_u32_e32 v11, s24, v7
	v_cmp_le_u32_e32 vcc_lo, s24, v7
	v_cndmask_b32_e32 v7, v7, v11, vcc_lo
	v_cndmask_b32_e32 v4, v4, v10, vcc_lo
	v_mov_b32_e32 v11, v3
	v_cmp_le_u32_e32 vcc_lo, s24, v7
	v_add_nc_u32_e32 v10, 1, v4
	v_cndmask_b32_e32 v10, v4, v10, vcc_lo
.LBB0_6:                                ;   in Loop: Header=BB0_2 Depth=1
	s_or_b32 exec_lo, exec_lo, s0
	v_mul_lo_u32 v4, v11, s24
	v_mul_lo_u32 v7, v10, s25
	s_load_dwordx2 s[0:1], s[6:7], 0x0
	v_mad_u64_u32 v[12:13], null, v10, s24, 0
	s_load_dwordx2 s[24:25], s[2:3], 0x0
	s_add_u32 s22, s22, 1
	s_addc_u32 s23, s23, 0
	s_add_u32 s2, s2, 8
	s_addc_u32 s3, s3, 0
	s_add_u32 s6, s6, 8
	v_add3_u32 v4, v13, v7, v4
	v_sub_co_u32 v5, vcc_lo, v5, v12
	s_addc_u32 s7, s7, 0
	s_add_u32 s20, s20, 8
	v_sub_co_ci_u32_e32 v4, vcc_lo, v6, v4, vcc_lo
	s_addc_u32 s21, s21, 0
	s_waitcnt lgkmcnt(0)
	v_mul_lo_u32 v6, s0, v4
	v_mul_lo_u32 v7, s1, v5
	v_mad_u64_u32 v[1:2], null, s0, v5, v[1:2]
	v_mul_lo_u32 v4, s24, v4
	v_mul_lo_u32 v12, s25, v5
	v_mad_u64_u32 v[8:9], null, s24, v5, v[8:9]
	v_cmp_ge_u64_e64 s0, s[22:23], s[14:15]
	v_add3_u32 v2, v7, v2, v6
	v_add3_u32 v9, v12, v9, v4
	s_and_b32 vcc_lo, exec_lo, s0
	s_cbranch_vccnz .LBB0_9
; %bb.7:                                ;   in Loop: Header=BB0_2 Depth=1
	v_mov_b32_e32 v5, v10
	v_mov_b32_e32 v6, v11
	s_branch .LBB0_2
.LBB0_8:
	v_mov_b32_e32 v9, v2
	v_mov_b32_e32 v11, v6
	;; [unrolled: 1-line block ×4, first 2 shown]
.LBB0_9:
	s_load_dwordx2 s[0:1], s[4:5], 0x28
	v_mul_hi_u32 v3, 0x10624de, v0
	s_lshl_b64 s[4:5], s[14:15], 3
                                        ; implicit-def: $vgpr12
	s_add_u32 s2, s18, s4
	s_addc_u32 s3, s19, s5
	s_waitcnt lgkmcnt(0)
	v_cmp_gt_u64_e32 vcc_lo, s[0:1], v[10:11]
	v_cmp_le_u64_e64 s0, s[0:1], v[10:11]
	s_and_saveexec_b32 s1, s0
	s_xor_b32 s0, exec_lo, s1
; %bb.10:
	v_mul_u32_u24_e32 v1, 0xfa, v3
                                        ; implicit-def: $vgpr3
	v_sub_nc_u32_e32 v12, v0, v1
                                        ; implicit-def: $vgpr0
                                        ; implicit-def: $vgpr1_vgpr2
; %bb.11:
	s_andn2_saveexec_b32 s1, s0
	s_cbranch_execz .LBB0_13
; %bb.12:
	s_add_u32 s4, s16, s4
	s_addc_u32 s5, s17, s5
	v_lshlrev_b64 v[1:2], 3, v[1:2]
	s_load_dwordx2 s[4:5], s[4:5], 0x0
	s_waitcnt lgkmcnt(0)
	v_mul_lo_u32 v6, s5, v10
	v_mul_lo_u32 v7, s4, v11
	v_mad_u64_u32 v[4:5], null, s4, v10, 0
	v_add3_u32 v5, v5, v7, v6
	v_mul_u32_u24_e32 v6, 0xfa, v3
	v_lshlrev_b64 v[3:4], 3, v[4:5]
	v_sub_nc_u32_e32 v12, v0, v6
	v_lshlrev_b32_e32 v6, 3, v12
	v_add_co_u32 v0, s0, s8, v3
	v_add_co_ci_u32_e64 v3, s0, s9, v4, s0
	v_add_co_u32 v0, s0, v0, v1
	v_add_co_ci_u32_e64 v1, s0, v3, v2, s0
	;; [unrolled: 2-line block ×3, first 2 shown]
	v_add_nc_u32_e32 v6, 0, v6
	v_add_co_u32 v2, s0, 0x800, v0
	v_add_co_ci_u32_e64 v3, s0, 0, v1, s0
	s_clause 0x2
	global_load_dwordx2 v[4:5], v[0:1], off
	global_load_dwordx2 v[0:1], v[0:1], off offset:2000
	global_load_dwordx2 v[2:3], v[2:3], off offset:1952
	s_waitcnt vmcnt(1)
	ds_write2_b64 v6, v[4:5], v[0:1] offset1:250
	s_waitcnt vmcnt(0)
	ds_write_b64 v6, v[2:3] offset:4000
.LBB0_13:
	s_or_b32 exec_lo, exec_lo, s1
	v_lshl_add_u32 v15, v12, 3, 0
	s_waitcnt lgkmcnt(0)
	s_barrier
	buffer_gl0_inv
	s_mov_b32 s1, exec_lo
	v_add_nc_u32_e32 v13, 0x800, v15
	v_add_nc_u32_e32 v14, 0xc00, v15
	;; [unrolled: 1-line block ×3, first 2 shown]
	ds_read2_b64 v[0:3], v15 offset1:75
	ds_read2_b64 v[4:7], v15 offset0:150 offset1:225
	ds_read2_b64 v[25:28], v13 offset0:44 offset1:119
	;; [unrolled: 1-line block ×4, first 2 shown]
	s_waitcnt lgkmcnt(0)
	s_barrier
	buffer_gl0_inv
	v_add_f32_e32 v13, v0, v4
	v_add_f32_e32 v16, v25, v29
	;; [unrolled: 1-line block ×3, first 2 shown]
	v_sub_f32_e32 v23, v26, v30
	v_sub_f32_e32 v17, v4, v25
	v_add_f32_e32 v13, v13, v25
	v_sub_f32_e32 v19, v33, v29
	v_sub_f32_e32 v21, v25, v4
	;; [unrolled: 1-line block ×3, first 2 shown]
	v_add_f32_e32 v37, v26, v30
	v_fma_f32 v18, -0.5, v16, v0
	v_fma_f32 v16, -0.5, v20, v0
	v_sub_f32_e32 v22, v5, v34
	v_sub_f32_e32 v4, v4, v33
	;; [unrolled: 1-line block ×3, first 2 shown]
	v_add_f32_e32 v40, v5, v34
	v_add_f32_e32 v13, v13, v29
	;; [unrolled: 1-line block ×4, first 2 shown]
	v_fma_f32 v21, -0.5, v37, v1
	v_fmamk_f32 v19, v23, 0xbf737871, v16
	v_fmac_f32_e32 v16, 0x3f737871, v23
	v_add_f32_e32 v14, v1, v5
	v_sub_f32_e32 v25, v5, v26
	v_sub_f32_e32 v39, v34, v30
	v_fmamk_f32 v17, v22, 0x3f737871, v18
	v_fmac_f32_e32 v18, 0xbf737871, v22
	v_add_f32_e32 v20, v13, v33
	v_fmac_f32_e32 v19, 0x3f167918, v22
	v_fmac_f32_e32 v16, 0xbf167918, v22
	v_fmamk_f32 v22, v4, 0xbf737871, v21
	v_fma_f32 v24, -0.5, v40, v1
	v_fmac_f32_e32 v21, 0x3f737871, v4
	v_sub_f32_e32 v1, v26, v5
	v_sub_f32_e32 v5, v30, v34
	v_add_f32_e32 v13, v2, v6
	v_add_f32_e32 v14, v14, v26
	v_fmac_f32_e32 v19, 0x3e9e377a, v0
	v_fmac_f32_e32 v16, 0x3e9e377a, v0
	;; [unrolled: 1-line block ×3, first 2 shown]
	v_add_f32_e32 v0, v25, v39
	v_fmamk_f32 v25, v38, 0x3f737871, v24
	v_fmac_f32_e32 v21, 0x3f167918, v38
	v_add_f32_e32 v1, v1, v5
	v_fmac_f32_e32 v24, 0xbf737871, v38
	v_add_f32_e32 v5, v13, v27
	v_add_f32_e32 v13, v27, v31
	;; [unrolled: 1-line block ×3, first 2 shown]
	v_fmac_f32_e32 v22, 0x3e9e377a, v0
	v_fmac_f32_e32 v25, 0xbf167918, v4
	;; [unrolled: 1-line block ×4, first 2 shown]
	v_add_f32_e32 v0, v5, v31
	v_fma_f32 v5, -0.5, v13, v2
	v_add_f32_e32 v4, v6, v35
	v_sub_f32_e32 v13, v7, v36
	v_fmac_f32_e32 v17, 0x3f167918, v23
	v_fmac_f32_e32 v18, 0xbf167918, v23
	v_add_f32_e32 v23, v14, v34
	v_fmac_f32_e32 v25, 0x3e9e377a, v1
	v_fmac_f32_e32 v24, 0x3e9e377a, v1
	v_add_f32_e32 v26, v0, v35
	v_sub_f32_e32 v0, v28, v32
	v_fma_f32 v1, -0.5, v4, v2
	v_fmamk_f32 v14, v13, 0x3f737871, v5
	v_sub_f32_e32 v2, v6, v27
	v_sub_f32_e32 v4, v35, v31
	v_fmac_f32_e32 v5, 0xbf737871, v13
	v_fmac_f32_e32 v17, 0x3e9e377a, v29
	;; [unrolled: 1-line block ×4, first 2 shown]
	v_add_f32_e32 v2, v2, v4
	v_fmac_f32_e32 v5, 0xbf167918, v0
	v_fmamk_f32 v33, v0, 0xbf737871, v1
	v_sub_f32_e32 v29, v27, v6
	v_sub_f32_e32 v30, v31, v35
	v_fmac_f32_e32 v1, 0x3f737871, v0
	v_fmac_f32_e32 v14, 0x3e9e377a, v2
	;; [unrolled: 1-line block ×3, first 2 shown]
	v_add_f32_e32 v0, v28, v32
	v_add_f32_e32 v2, v7, v36
	v_fmac_f32_e32 v33, 0x3f167918, v13
	v_add_f32_e32 v4, v29, v30
	v_fmac_f32_e32 v1, 0xbf167918, v13
	v_add_f32_e32 v13, v3, v7
	v_fma_f32 v34, -0.5, v0, v3
	v_sub_f32_e32 v0, v6, v35
	v_sub_f32_e32 v6, v27, v31
	v_fmac_f32_e32 v3, -0.5, v2
	v_fmac_f32_e32 v33, 0x3e9e377a, v4
	v_fmac_f32_e32 v1, 0x3e9e377a, v4
	v_add_f32_e32 v2, v13, v28
	v_sub_f32_e32 v4, v7, v28
	v_fmamk_f32 v37, v6, 0x3f737871, v3
	v_sub_f32_e32 v7, v28, v7
	v_sub_f32_e32 v13, v32, v36
	v_fmamk_f32 v35, v0, 0xbf737871, v34
	v_sub_f32_e32 v27, v36, v32
	v_fmac_f32_e32 v3, 0xbf737871, v6
	v_fmac_f32_e32 v37, 0xbf167918, v0
	v_add_f32_e32 v7, v7, v13
	v_fmac_f32_e32 v34, 0x3f737871, v0
	v_add_f32_e32 v4, v4, v27
	v_fmac_f32_e32 v3, 0x3f167918, v0
	v_fmac_f32_e32 v35, 0xbf167918, v6
	;; [unrolled: 1-line block ×4, first 2 shown]
	v_add_f32_e32 v0, v2, v32
	v_fmac_f32_e32 v3, 0x3e9e377a, v7
	v_mul_f32_e32 v2, 0x3e9e377a, v1
	v_mul_f32_e32 v28, 0x3f737871, v37
	v_fmac_f32_e32 v34, 0x3e9e377a, v4
	v_mul_f32_e32 v7, 0x3f4f1bbd, v5
	v_fmac_f32_e32 v35, 0x3e9e377a, v4
	;; [unrolled: 2-line block ×3, first 2 shown]
	v_fma_f32 v29, 0x3f737871, v3, -v2
	v_fma_f32 v31, 0x3f167918, v34, -v7
	v_mul_f32_e32 v32, 0xbf167918, v14
	v_mul_f32_e32 v33, 0xbf737871, v33
	;; [unrolled: 1-line block ×4, first 2 shown]
	v_add_f32_e32 v30, v0, v36
	v_fmac_f32_e32 v27, 0x3f167918, v35
	v_fmac_f32_e32 v32, 0x3f4f1bbd, v35
	;; [unrolled: 1-line block ×3, first 2 shown]
	v_fma_f32 v34, 0xbf737871, v1, -v3
	v_fma_f32 v35, 0xbf167918, v5, -v7
	v_add_f32_e32 v0, v20, v26
	v_add_f32_e32 v4, v17, v27
	;; [unrolled: 1-line block ×10, first 2 shown]
	v_cmpx_gt_u32_e32 0x4b, v12
	s_cbranch_execz .LBB0_15
; %bb.14:
	v_sub_f32_e32 v35, v21, v35
	v_sub_f32_e32 v21, v24, v34
	;; [unrolled: 1-line block ×3, first 2 shown]
	v_mad_u32_u24 v18, 0x48, v12, v15
	v_sub_f32_e32 v37, v23, v30
	v_sub_f32_e32 v36, v20, v26
	v_sub_f32_e32 v24, v25, v33
	v_sub_f32_e32 v32, v22, v32
	v_sub_f32_e32 v23, v19, v28
	v_sub_f32_e32 v31, v17, v27
	v_sub_f32_e32 v20, v16, v29
	ds_write2_b64 v18, v[0:1], v[4:5] offset1:1
	ds_write2_b64 v18, v[6:7], v[2:3] offset0:2 offset1:3
	ds_write2_b64 v18, v[13:14], v[36:37] offset0:4 offset1:5
	;; [unrolled: 1-line block ×4, first 2 shown]
.LBB0_15:
	s_or_b32 exec_lo, exec_lo, s1
	v_cmp_gt_u32_e64 s0, 0x96, v12
	s_waitcnt lgkmcnt(0)
	s_barrier
	buffer_gl0_inv
	s_and_saveexec_b32 s1, s0
	s_cbranch_execz .LBB0_17
; %bb.16:
	v_add_nc_u32_e32 v0, 0xc00, v15
	v_add_nc_u32_e32 v1, 0x400, v15
	ds_read2_b64 v[2:5], v0 offset0:66 offset1:216
	ds_read2_b64 v[16:19], v1 offset0:22 offset1:172
	ds_read2_b32 v[0:1], v15 offset1:1
	s_waitcnt lgkmcnt(2)
	v_mov_b32_e32 v14, v5
	v_mov_b32_e32 v13, v4
	s_waitcnt lgkmcnt(1)
	v_mov_b32_e32 v7, v19
	v_mov_b32_e32 v6, v18
	;; [unrolled: 1-line block ×4, first 2 shown]
.LBB0_17:
	s_or_b32 exec_lo, exec_lo, s1
	v_and_b32_e32 v16, 0xff, v12
	v_mov_b32_e32 v19, 5
	v_mul_lo_u16 v17, 0xcd, v16
	v_lshrrev_b16 v17, 11, v17
	v_mul_lo_u16 v18, v17, 10
	v_sub_nc_u16 v18, v12, v18
	v_lshlrev_b32_sdwa v19, v19, v18 dst_sel:DWORD dst_unused:UNUSED_PAD src0_sel:DWORD src1_sel:BYTE_0
	s_clause 0x1
	global_load_dwordx4 v[23:26], v19, s[12:13]
	global_load_dwordx4 v[27:30], v19, s[12:13] offset:16
	s_waitcnt vmcnt(0) lgkmcnt(0)
	s_barrier
	buffer_gl0_inv
	v_mul_f32_e32 v31, v5, v24
	v_mul_f32_e32 v21, v4, v24
	;; [unrolled: 1-line block ×8, first 2 shown]
	v_fmac_f32_e32 v21, v5, v23
	v_fma_f32 v6, v6, v25, -v24
	v_fmac_f32_e32 v22, v7, v25
	v_fma_f32 v5, v2, v27, -v26
	v_fmac_f32_e32 v19, v14, v29
	v_fmac_f32_e32 v20, v3, v27
	v_fma_f32 v7, v4, v23, -v31
	v_fma_f32 v4, v13, v29, -v28
	v_add_f32_e32 v2, v6, v5
	v_add_f32_e32 v33, v21, v19
	;; [unrolled: 1-line block ×3, first 2 shown]
	v_sub_f32_e32 v23, v21, v19
	v_add_f32_e32 v14, v7, v4
	v_sub_f32_e32 v26, v22, v20
	v_sub_f32_e32 v3, v7, v6
	;; [unrolled: 1-line block ×5, first 2 shown]
	v_fma_f32 v25, -0.5, v2, v0
	v_fma_f32 v24, -0.5, v14, v0
	;; [unrolled: 1-line block ×4, first 2 shown]
	v_sub_f32_e32 v29, v6, v7
	v_sub_f32_e32 v30, v5, v4
	;; [unrolled: 1-line block ×6, first 2 shown]
	v_add_f32_e32 v34, v3, v13
	v_fmamk_f32 v13, v23, 0xbf737871, v25
	v_fmamk_f32 v2, v26, 0x3f737871, v24
	;; [unrolled: 1-line block ×4, first 2 shown]
	v_add_f32_e32 v29, v29, v30
	v_add_f32_e32 v30, v32, v35
	;; [unrolled: 1-line block ×3, first 2 shown]
	v_fmac_f32_e32 v13, 0xbf167918, v26
	v_fmac_f32_e32 v2, 0xbf167918, v23
	;; [unrolled: 1-line block ×8, first 2 shown]
	s_and_saveexec_b32 s1, s0
	s_cbranch_execz .LBB0_19
; %bb.18:
	v_mul_f32_e32 v38, 0x3f737871, v27
	v_mul_f32_e32 v37, 0x3f737871, v28
	;; [unrolled: 1-line block ×3, first 2 shown]
	v_add_f32_e32 v1, v1, v21
	v_mul_f32_e32 v35, 0x3f737871, v23
	v_sub_f32_e32 v31, v31, v38
	v_mul_f32_e32 v21, 0x3e9e377a, v30
	v_add_f32_e32 v0, v0, v7
	v_add_f32_e32 v22, v1, v22
	v_mul_f32_e32 v36, 0x3f167918, v26
	v_sub_f32_e32 v28, v31, v28
	v_mul_f32_e32 v26, 0x3f737871, v26
	v_add_f32_e32 v0, v0, v6
	v_add_f32_e32 v20, v22, v20
	v_mov_b32_e32 v6, 0x190
	v_add_f32_e32 v7, v21, v28
	v_add_f32_e32 v21, v25, v35
	v_mov_b32_e32 v22, 3
	v_mul_f32_e32 v23, 0x3f167918, v23
	v_mul_f32_e32 v27, 0x3f167918, v27
	v_add_f32_e32 v33, v37, v33
	v_sub_f32_e32 v24, v24, v26
	v_mul_f32_e32 v34, 0x3e9e377a, v34
	v_add_f32_e32 v21, v36, v21
	v_add_f32_e32 v0, v0, v5
	v_mul_u32_u24_sdwa v17, v17, v6 dst_sel:DWORD dst_unused:UNUSED_PAD src0_sel:WORD_0 src1_sel:DWORD
	v_lshlrev_b32_sdwa v18, v22, v18 dst_sel:DWORD dst_unused:UNUSED_PAD src0_sel:DWORD src1_sel:BYTE_0
	v_mul_f32_e32 v30, 0x3e9e377a, v32
	v_sub_f32_e32 v27, v33, v27
	v_mul_f32_e32 v29, 0x3e9e377a, v29
	v_add_f32_e32 v22, v23, v24
	v_add_f32_e32 v5, v20, v19
	;; [unrolled: 1-line block ×4, first 2 shown]
	v_add3_u32 v17, 0, v17, v18
	v_add_f32_e32 v1, v30, v27
	v_add_f32_e32 v0, v29, v22
	ds_write2_b64 v17, v[4:5], v[6:7] offset1:10
	ds_write2_b64 v17, v[0:1], v[2:3] offset0:20 offset1:30
	ds_write_b64 v17, v[13:14] offset:320
.LBB0_19:
	s_or_b32 exec_lo, exec_lo, s1
	v_mul_lo_u16 v0, v16, 41
	v_mov_b32_e32 v1, 4
	s_load_dwordx2 s[2:3], s[2:3], 0x0
	s_waitcnt lgkmcnt(0)
	s_barrier
	v_lshrrev_b16 v20, 11, v0
	buffer_gl0_inv
	v_mov_b32_e32 v22, 0x4b0
	v_mov_b32_e32 v23, 3
	v_mul_lo_u16 v0, v20, 50
	v_mul_u32_u24_sdwa v20, v20, v22 dst_sel:DWORD dst_unused:UNUSED_PAD src0_sel:WORD_0 src1_sel:DWORD
	v_sub_nc_u16 v21, v12, v0
	v_lshlrev_b32_sdwa v0, v1, v21 dst_sel:DWORD dst_unused:UNUSED_PAD src0_sel:DWORD src1_sel:BYTE_0
	v_lshlrev_b32_sdwa v21, v23, v21 dst_sel:DWORD dst_unused:UNUSED_PAD src0_sel:DWORD src1_sel:BYTE_0
	global_load_dwordx4 v[4:7], v0, s[12:13] offset:320
	ds_read2_b64 v[16:19], v15 offset1:250
	ds_read_b64 v[0:1], v15 offset:4000
	s_waitcnt vmcnt(0) lgkmcnt(0)
	s_barrier
	buffer_gl0_inv
	v_mul_f32_e32 v22, v5, v19
	v_mul_f32_e32 v24, v7, v1
	;; [unrolled: 1-line block ×4, first 2 shown]
	v_fma_f32 v4, v4, v18, -v22
	v_fma_f32 v22, v6, v0, -v24
	v_fmac_f32_e32 v19, v5, v18
	v_fmac_f32_e32 v7, v6, v1
	v_add3_u32 v18, 0, v20, v21
	v_add_f32_e32 v5, v4, v16
	v_add_f32_e32 v0, v4, v22
	;; [unrolled: 1-line block ×4, first 2 shown]
	v_sub_f32_e32 v20, v19, v7
	v_fma_f32 v0, -0.5, v0, v16
	v_sub_f32_e32 v16, v4, v22
	v_fma_f32 v1, -0.5, v1, v17
	v_add_f32_e32 v4, v5, v22
	v_add_f32_e32 v5, v6, v7
	v_fmamk_f32 v6, v20, 0x3f5db3d7, v0
	v_fmac_f32_e32 v0, 0xbf5db3d7, v20
	v_fmamk_f32 v7, v16, 0xbf5db3d7, v1
	v_fmac_f32_e32 v1, 0x3f5db3d7, v16
	ds_write2_b64 v18, v[4:5], v[6:7] offset1:50
	ds_write_b64 v18, v[0:1] offset:800
	s_waitcnt lgkmcnt(0)
	s_barrier
	buffer_gl0_inv
	s_and_saveexec_b32 s1, s0
	s_cbranch_execz .LBB0_21
; %bb.20:
	v_add_nc_u32_e32 v0, 0x800, v15
	ds_read2_b64 v[4:7], v15 offset1:150
	ds_read2_b64 v[0:3], v0 offset0:44 offset1:194
	ds_read_b64 v[13:14], v15 offset:4800
.LBB0_21:
	s_or_b32 exec_lo, exec_lo, s1
	s_waitcnt lgkmcnt(0)
	s_barrier
	buffer_gl0_inv
	s_and_saveexec_b32 s1, s0
	s_cbranch_execz .LBB0_23
; %bb.22:
	v_lshlrev_b32_e32 v16, 2, v12
	v_mov_b32_e32 v17, 0
	v_add_nc_u32_e32 v24, 0x800, v15
	v_add_nc_u32_e32 v18, 0xfffffda8, v16
	v_cndmask_b32_e64 v16, v18, v16, s0
	v_lshlrev_b64 v[16:17], 3, v[16:17]
	v_add_co_u32 v20, s0, s12, v16
	v_add_co_ci_u32_e64 v21, s0, s13, v17, s0
	s_clause 0x1
	global_load_dwordx4 v[16:19], v[20:21], off offset:1120
	global_load_dwordx4 v[20:23], v[20:21], off offset:1136
	s_waitcnt vmcnt(1)
	v_mul_f32_e32 v25, v0, v19
	v_mul_f32_e32 v26, v6, v17
	s_waitcnt vmcnt(0)
	v_mul_f32_e32 v27, v2, v21
	v_mul_f32_e32 v28, v13, v23
	v_mul_f32_e32 v17, v7, v17
	v_mul_f32_e32 v19, v1, v19
	v_mul_f32_e32 v21, v3, v21
	v_mul_f32_e32 v23, v14, v23
	v_fmac_f32_e32 v25, v1, v18
	v_fmac_f32_e32 v26, v7, v16
	;; [unrolled: 1-line block ×4, first 2 shown]
	v_fma_f32 v1, v6, v16, -v17
	v_fma_f32 v6, v0, v18, -v19
	;; [unrolled: 1-line block ×4, first 2 shown]
	v_sub_f32_e32 v0, v25, v26
	v_sub_f32_e32 v2, v27, v28
	v_add_f32_e32 v3, v26, v28
	v_add_f32_e32 v19, v25, v27
	;; [unrolled: 1-line block ×4, first 2 shown]
	v_sub_f32_e32 v16, v1, v13
	v_sub_f32_e32 v7, v26, v25
	;; [unrolled: 1-line block ×3, first 2 shown]
	v_add_f32_e32 v20, v5, v26
	v_sub_f32_e32 v21, v6, v1
	v_sub_f32_e32 v22, v14, v13
	;; [unrolled: 1-line block ×4, first 2 shown]
	v_add_f32_e32 v33, v4, v1
	v_add_f32_e32 v34, v0, v2
	v_fma_f32 v1, -0.5, v3, v5
	v_fma_f32 v3, -0.5, v19, v5
	;; [unrolled: 1-line block ×3, first 2 shown]
	v_sub_f32_e32 v17, v6, v14
	v_sub_f32_e32 v29, v25, v27
	v_fma_f32 v0, -0.5, v23, v4
	v_sub_f32_e32 v31, v13, v14
	v_add_f32_e32 v18, v7, v18
	v_add_f32_e32 v19, v20, v25
	;; [unrolled: 1-line block ×4, first 2 shown]
	v_fmamk_f32 v7, v16, 0x3f737871, v3
	v_fmac_f32_e32 v3, 0xbf737871, v16
	v_fmamk_f32 v6, v26, 0xbf737871, v2
	v_fmac_f32_e32 v2, 0x3f737871, v26
	v_fmamk_f32 v5, v17, 0xbf737871, v1
	v_fmac_f32_e32 v1, 0x3f737871, v17
	v_fmamk_f32 v4, v29, 0x3f737871, v0
	v_fmac_f32_e32 v0, 0xbf737871, v29
	v_add_f32_e32 v21, v30, v31
	v_add_f32_e32 v19, v19, v27
	;; [unrolled: 1-line block ×3, first 2 shown]
	v_fmac_f32_e32 v3, 0xbf167918, v17
	v_fmac_f32_e32 v2, 0x3f167918, v29
	;; [unrolled: 1-line block ×8, first 2 shown]
	v_add_f32_e32 v14, v19, v28
	v_add_f32_e32 v13, v22, v13
	v_fmac_f32_e32 v3, 0x3e9e377a, v18
	v_fmac_f32_e32 v2, 0x3e9e377a, v21
	;; [unrolled: 1-line block ×8, first 2 shown]
	ds_write2_b64 v15, v[13:14], v[2:3] offset1:150
	ds_write2_b64 v24, v[0:1], v[4:5] offset0:44 offset1:194
	ds_write_b64 v15, v[6:7] offset:4800
.LBB0_23:
	s_or_b32 exec_lo, exec_lo, s1
	s_waitcnt lgkmcnt(0)
	s_barrier
	buffer_gl0_inv
	ds_read_b64 v[0:1], v15
	v_lshlrev_b32_e32 v2, 3, v12
	s_add_u32 s1, s12, 0x1720
	s_addc_u32 s4, s13, 0
	s_mov_b32 s5, exec_lo
                                        ; implicit-def: $vgpr4
                                        ; implicit-def: $vgpr3
	v_sub_nc_u32_e32 v2, 0, v2
	v_cmpx_ne_u32_e32 0, v12
	s_xor_b32 s5, exec_lo, s5
	s_cbranch_execz .LBB0_25
; %bb.24:
	v_mov_b32_e32 v13, 0
	ds_read_b64 v[6:7], v2 offset:6000
	v_lshlrev_b64 v[3:4], 3, v[12:13]
	v_add_co_u32 v3, s0, s1, v3
	v_add_co_ci_u32_e64 v4, s0, s4, v4, s0
	global_load_dwordx2 v[4:5], v[3:4], off
	s_waitcnt lgkmcnt(0)
	v_sub_f32_e32 v3, v0, v6
	v_add_f32_e32 v13, v7, v1
	v_sub_f32_e32 v1, v1, v7
	v_add_f32_e32 v0, v6, v0
	v_mul_f32_e32 v7, 0.5, v3
	v_mul_f32_e32 v13, 0.5, v13
	;; [unrolled: 1-line block ×3, first 2 shown]
	s_waitcnt vmcnt(0)
	v_mul_f32_e32 v6, v5, v7
	v_fma_f32 v14, v13, v5, v1
	v_fma_f32 v1, v13, v5, -v1
	v_fma_f32 v3, 0.5, v0, v6
	v_fma_f32 v0, v0, 0.5, -v6
	v_fma_f32 v5, -v4, v7, v14
	v_fma_f32 v1, -v4, v7, v1
	ds_write_b32 v15, v5 offset:4
	ds_write_b32 v2, v1 offset:6004
	v_fmac_f32_e32 v3, v4, v13
	v_fma_f32 v4, -v4, v13, v0
                                        ; implicit-def: $vgpr0_vgpr1
.LBB0_25:
	s_andn2_saveexec_b32 s0, s5
	s_cbranch_execz .LBB0_27
; %bb.26:
	v_mov_b32_e32 v5, 0
	s_waitcnt lgkmcnt(0)
	v_add_f32_e32 v3, v0, v1
	ds_write_b32 v15, v5 offset:4
	ds_write_b32 v2, v5 offset:6004
	ds_read_b32 v4, v5 offset:3004
	s_waitcnt lgkmcnt(0)
	v_xor_b32_e32 v6, 0x80000000, v4
	v_sub_f32_e32 v4, v0, v1
	ds_write_b32 v5, v6 offset:3004
.LBB0_27:
	s_or_b32 exec_lo, exec_lo, s0
	s_mov_b32 s5, exec_lo
	ds_write_b32 v15, v3
	ds_write_b32 v2, v4 offset:6000
	v_cmpx_gt_u32_e32 0x7d, v12
	s_cbranch_execz .LBB0_29
; %bb.28:
	v_mov_b32_e32 v13, 0
	s_waitcnt lgkmcnt(2)
	v_lshlrev_b64 v[0:1], 3, v[12:13]
	v_add_co_u32 v0, s0, s1, v0
	v_add_co_ci_u32_e64 v1, s0, s4, v1, s0
	global_load_dwordx2 v[0:1], v[0:1], off offset:2000
	ds_read_b64 v[3:4], v15 offset:2000
	ds_read_b64 v[5:6], v2 offset:4000
	s_waitcnt lgkmcnt(0)
	v_sub_f32_e32 v7, v3, v5
	v_add_f32_e32 v13, v4, v6
	v_sub_f32_e32 v4, v4, v6
	v_add_f32_e32 v5, v3, v5
	v_mul_f32_e32 v6, 0.5, v7
	v_mul_f32_e32 v7, 0.5, v13
	;; [unrolled: 1-line block ×3, first 2 shown]
	s_waitcnt vmcnt(0)
	v_mul_f32_e32 v13, v1, v6
	v_fma_f32 v14, v7, v1, v4
	v_fma_f32 v1, v7, v1, -v4
	v_fma_f32 v3, 0.5, v5, v13
	v_fma_f32 v5, v5, 0.5, -v13
	v_fma_f32 v4, -v0, v6, v14
	v_fma_f32 v1, -v0, v6, v1
	v_fmac_f32_e32 v3, v0, v7
	v_fma_f32 v0, -v0, v7, v5
	ds_write_b64 v15, v[3:4] offset:2000
	ds_write_b64 v2, v[0:1] offset:4000
.LBB0_29:
	s_or_b32 exec_lo, exec_lo, s5
	s_waitcnt lgkmcnt(0)
	s_barrier
	buffer_gl0_inv
	s_and_saveexec_b32 s0, vcc_lo
	s_cbranch_execz .LBB0_32
; %bb.30:
	v_mul_lo_u32 v2, s3, v10
	v_mul_lo_u32 v3, s2, v11
	v_mad_u64_u32 v[0:1], null, s2, v10, 0
	v_mov_b32_e32 v13, 0
	v_lshl_add_u32 v16, v12, 3, 0
	v_lshlrev_b64 v[6:7], 3, v[8:9]
	v_add_nc_u32_e32 v8, 0xfa, v12
	v_add_nc_u32_e32 v10, 0x1f4, v12
	v_mov_b32_e32 v9, v13
	v_add3_u32 v1, v1, v3, v2
	ds_read2_b64 v[2:5], v16 offset1:250
	v_lshlrev_b64 v[14:15], 3, v[12:13]
	v_mov_b32_e32 v11, v13
	ds_read_b64 v[16:17], v16 offset:4000
	v_lshlrev_b64 v[0:1], 3, v[0:1]
	v_lshlrev_b64 v[8:9], 3, v[8:9]
	v_add_co_u32 v0, vcc_lo, s10, v0
	v_add_co_ci_u32_e32 v1, vcc_lo, s11, v1, vcc_lo
	v_add_co_u32 v0, vcc_lo, v0, v6
	v_add_co_ci_u32_e32 v1, vcc_lo, v1, v7, vcc_lo
	v_lshlrev_b64 v[6:7], 3, v[10:11]
	v_add_co_u32 v10, vcc_lo, v0, v14
	v_add_co_ci_u32_e32 v11, vcc_lo, v1, v15, vcc_lo
	v_add_co_u32 v8, vcc_lo, v0, v8
	v_add_co_ci_u32_e32 v9, vcc_lo, v1, v9, vcc_lo
	;; [unrolled: 2-line block ×3, first 2 shown]
	v_cmp_eq_u32_e32 vcc_lo, 0xf9, v12
	s_waitcnt lgkmcnt(1)
	global_store_dwordx2 v[10:11], v[2:3], off
	global_store_dwordx2 v[8:9], v[4:5], off
	s_waitcnt lgkmcnt(0)
	global_store_dwordx2 v[6:7], v[16:17], off
	s_and_b32 exec_lo, exec_lo, vcc_lo
	s_cbranch_execz .LBB0_32
; %bb.31:
	ds_read_b64 v[2:3], v13 offset:6000
	v_add_co_u32 v0, vcc_lo, 0x1000, v0
	v_add_co_ci_u32_e32 v1, vcc_lo, 0, v1, vcc_lo
	s_waitcnt lgkmcnt(0)
	global_store_dwordx2 v[0:1], v[2:3], off offset:1904
.LBB0_32:
	s_endpgm
	.section	.rodata,"a",@progbits
	.p2align	6, 0x0
	.amdhsa_kernel fft_rtc_fwd_len750_factors_10_5_3_5_wgs_250_tpt_250_halfLds_sp_op_CI_CI_unitstride_sbrr_R2C_dirReg
		.amdhsa_group_segment_fixed_size 0
		.amdhsa_private_segment_fixed_size 0
		.amdhsa_kernarg_size 104
		.amdhsa_user_sgpr_count 6
		.amdhsa_user_sgpr_private_segment_buffer 1
		.amdhsa_user_sgpr_dispatch_ptr 0
		.amdhsa_user_sgpr_queue_ptr 0
		.amdhsa_user_sgpr_kernarg_segment_ptr 1
		.amdhsa_user_sgpr_dispatch_id 0
		.amdhsa_user_sgpr_flat_scratch_init 0
		.amdhsa_user_sgpr_private_segment_size 0
		.amdhsa_wavefront_size32 1
		.amdhsa_uses_dynamic_stack 0
		.amdhsa_system_sgpr_private_segment_wavefront_offset 0
		.amdhsa_system_sgpr_workgroup_id_x 1
		.amdhsa_system_sgpr_workgroup_id_y 0
		.amdhsa_system_sgpr_workgroup_id_z 0
		.amdhsa_system_sgpr_workgroup_info 0
		.amdhsa_system_vgpr_workitem_id 0
		.amdhsa_next_free_vgpr 41
		.amdhsa_next_free_sgpr 27
		.amdhsa_reserve_vcc 1
		.amdhsa_reserve_flat_scratch 0
		.amdhsa_float_round_mode_32 0
		.amdhsa_float_round_mode_16_64 0
		.amdhsa_float_denorm_mode_32 3
		.amdhsa_float_denorm_mode_16_64 3
		.amdhsa_dx10_clamp 1
		.amdhsa_ieee_mode 1
		.amdhsa_fp16_overflow 0
		.amdhsa_workgroup_processor_mode 1
		.amdhsa_memory_ordered 1
		.amdhsa_forward_progress 0
		.amdhsa_shared_vgpr_count 0
		.amdhsa_exception_fp_ieee_invalid_op 0
		.amdhsa_exception_fp_denorm_src 0
		.amdhsa_exception_fp_ieee_div_zero 0
		.amdhsa_exception_fp_ieee_overflow 0
		.amdhsa_exception_fp_ieee_underflow 0
		.amdhsa_exception_fp_ieee_inexact 0
		.amdhsa_exception_int_div_zero 0
	.end_amdhsa_kernel
	.text
.Lfunc_end0:
	.size	fft_rtc_fwd_len750_factors_10_5_3_5_wgs_250_tpt_250_halfLds_sp_op_CI_CI_unitstride_sbrr_R2C_dirReg, .Lfunc_end0-fft_rtc_fwd_len750_factors_10_5_3_5_wgs_250_tpt_250_halfLds_sp_op_CI_CI_unitstride_sbrr_R2C_dirReg
                                        ; -- End function
	.section	.AMDGPU.csdata,"",@progbits
; Kernel info:
; codeLenInByte = 4896
; NumSgprs: 29
; NumVgprs: 41
; ScratchSize: 0
; MemoryBound: 0
; FloatMode: 240
; IeeeMode: 1
; LDSByteSize: 0 bytes/workgroup (compile time only)
; SGPRBlocks: 3
; VGPRBlocks: 5
; NumSGPRsForWavesPerEU: 29
; NumVGPRsForWavesPerEU: 41
; Occupancy: 16
; WaveLimiterHint : 1
; COMPUTE_PGM_RSRC2:SCRATCH_EN: 0
; COMPUTE_PGM_RSRC2:USER_SGPR: 6
; COMPUTE_PGM_RSRC2:TRAP_HANDLER: 0
; COMPUTE_PGM_RSRC2:TGID_X_EN: 1
; COMPUTE_PGM_RSRC2:TGID_Y_EN: 0
; COMPUTE_PGM_RSRC2:TGID_Z_EN: 0
; COMPUTE_PGM_RSRC2:TIDIG_COMP_CNT: 0
	.text
	.p2alignl 6, 3214868480
	.fill 48, 4, 3214868480
	.type	__hip_cuid_641fffd36eb8813f,@object ; @__hip_cuid_641fffd36eb8813f
	.section	.bss,"aw",@nobits
	.globl	__hip_cuid_641fffd36eb8813f
__hip_cuid_641fffd36eb8813f:
	.byte	0                               ; 0x0
	.size	__hip_cuid_641fffd36eb8813f, 1

	.ident	"AMD clang version 19.0.0git (https://github.com/RadeonOpenCompute/llvm-project roc-6.4.0 25133 c7fe45cf4b819c5991fe208aaa96edf142730f1d)"
	.section	".note.GNU-stack","",@progbits
	.addrsig
	.addrsig_sym __hip_cuid_641fffd36eb8813f
	.amdgpu_metadata
---
amdhsa.kernels:
  - .args:
      - .actual_access:  read_only
        .address_space:  global
        .offset:         0
        .size:           8
        .value_kind:     global_buffer
      - .offset:         8
        .size:           8
        .value_kind:     by_value
      - .actual_access:  read_only
        .address_space:  global
        .offset:         16
        .size:           8
        .value_kind:     global_buffer
      - .actual_access:  read_only
        .address_space:  global
        .offset:         24
        .size:           8
        .value_kind:     global_buffer
      - .actual_access:  read_only
        .address_space:  global
        .offset:         32
        .size:           8
        .value_kind:     global_buffer
      - .offset:         40
        .size:           8
        .value_kind:     by_value
      - .actual_access:  read_only
        .address_space:  global
        .offset:         48
        .size:           8
        .value_kind:     global_buffer
      - .actual_access:  read_only
        .address_space:  global
        .offset:         56
        .size:           8
        .value_kind:     global_buffer
      - .offset:         64
        .size:           4
        .value_kind:     by_value
      - .actual_access:  read_only
        .address_space:  global
        .offset:         72
        .size:           8
        .value_kind:     global_buffer
      - .actual_access:  read_only
        .address_space:  global
        .offset:         80
        .size:           8
        .value_kind:     global_buffer
      - .actual_access:  read_only
        .address_space:  global
        .offset:         88
        .size:           8
        .value_kind:     global_buffer
      - .actual_access:  write_only
        .address_space:  global
        .offset:         96
        .size:           8
        .value_kind:     global_buffer
    .group_segment_fixed_size: 0
    .kernarg_segment_align: 8
    .kernarg_segment_size: 104
    .language:       OpenCL C
    .language_version:
      - 2
      - 0
    .max_flat_workgroup_size: 250
    .name:           fft_rtc_fwd_len750_factors_10_5_3_5_wgs_250_tpt_250_halfLds_sp_op_CI_CI_unitstride_sbrr_R2C_dirReg
    .private_segment_fixed_size: 0
    .sgpr_count:     29
    .sgpr_spill_count: 0
    .symbol:         fft_rtc_fwd_len750_factors_10_5_3_5_wgs_250_tpt_250_halfLds_sp_op_CI_CI_unitstride_sbrr_R2C_dirReg.kd
    .uniform_work_group_size: 1
    .uses_dynamic_stack: false
    .vgpr_count:     41
    .vgpr_spill_count: 0
    .wavefront_size: 32
    .workgroup_processor_mode: 1
amdhsa.target:   amdgcn-amd-amdhsa--gfx1030
amdhsa.version:
  - 1
  - 2
...

	.end_amdgpu_metadata
